;; amdgpu-corpus repo=ROCm/rocFFT kind=compiled arch=gfx950 opt=O3
	.text
	.amdgcn_target "amdgcn-amd-amdhsa--gfx950"
	.amdhsa_code_object_version 6
	.protected	fft_rtc_back_len3888_factors_16_3_3_3_3_3_wgs_324_tpt_324_halfLds_half_ip_CI_unitstride_sbrr_dirReg ; -- Begin function fft_rtc_back_len3888_factors_16_3_3_3_3_3_wgs_324_tpt_324_halfLds_half_ip_CI_unitstride_sbrr_dirReg
	.globl	fft_rtc_back_len3888_factors_16_3_3_3_3_3_wgs_324_tpt_324_halfLds_half_ip_CI_unitstride_sbrr_dirReg
	.p2align	8
	.type	fft_rtc_back_len3888_factors_16_3_3_3_3_3_wgs_324_tpt_324_halfLds_half_ip_CI_unitstride_sbrr_dirReg,@function
fft_rtc_back_len3888_factors_16_3_3_3_3_3_wgs_324_tpt_324_halfLds_half_ip_CI_unitstride_sbrr_dirReg: ; @fft_rtc_back_len3888_factors_16_3_3_3_3_3_wgs_324_tpt_324_halfLds_half_ip_CI_unitstride_sbrr_dirReg
; %bb.0:
	s_load_dwordx2 s[8:9], s[0:1], 0x50
	s_load_dwordx4 s[4:7], s[0:1], 0x0
	s_load_dwordx2 s[10:11], s[0:1], 0x18
	v_mul_u32_u24_e32 v1, 0x195, v0
	v_lshrrev_b32_e32 v1, 17, v1
	v_add_u32_e32 v6, s2, v1
	v_mov_b32_e32 v4, 0
	s_waitcnt lgkmcnt(0)
	v_cmp_lt_u64_e64 s[2:3], s[6:7], 2
	v_mov_b32_e32 v7, v4
	s_and_b64 vcc, exec, s[2:3]
	v_mov_b64_e32 v[2:3], 0
	s_cbranch_vccnz .LBB0_8
; %bb.1:
	s_load_dwordx2 s[2:3], s[0:1], 0x10
	s_add_u32 s12, s10, 8
	s_addc_u32 s13, s11, 0
	s_mov_b64 s[14:15], 1
	v_mov_b64_e32 v[2:3], 0
	s_waitcnt lgkmcnt(0)
	s_add_u32 s16, s2, 8
	s_addc_u32 s17, s3, 0
.LBB0_2:                                ; =>This Inner Loop Header: Depth=1
	s_load_dwordx2 s[18:19], s[16:17], 0x0
                                        ; implicit-def: $vgpr8_vgpr9
	s_waitcnt lgkmcnt(0)
	v_or_b32_e32 v5, s19, v7
	v_cmp_ne_u64_e32 vcc, 0, v[4:5]
	s_and_saveexec_b64 s[2:3], vcc
	s_xor_b64 s[20:21], exec, s[2:3]
	s_cbranch_execz .LBB0_4
; %bb.3:                                ;   in Loop: Header=BB0_2 Depth=1
	v_cvt_f32_u32_e32 v1, s18
	v_cvt_f32_u32_e32 v5, s19
	s_sub_u32 s2, 0, s18
	s_subb_u32 s3, 0, s19
	v_fmac_f32_e32 v1, 0x4f800000, v5
	v_rcp_f32_e32 v1, v1
	s_nop 0
	v_mul_f32_e32 v1, 0x5f7ffffc, v1
	v_mul_f32_e32 v5, 0x2f800000, v1
	v_trunc_f32_e32 v5, v5
	v_fmac_f32_e32 v1, 0xcf800000, v5
	v_cvt_u32_f32_e32 v5, v5
	v_cvt_u32_f32_e32 v1, v1
	v_mul_lo_u32 v8, s2, v5
	v_mul_hi_u32 v10, s2, v1
	v_mul_lo_u32 v9, s3, v1
	v_add_u32_e32 v10, v10, v8
	v_mul_lo_u32 v12, s2, v1
	v_add_u32_e32 v13, v10, v9
	v_mul_hi_u32 v8, v1, v12
	v_mul_hi_u32 v11, v1, v13
	v_mul_lo_u32 v10, v1, v13
	v_mov_b32_e32 v9, v4
	v_lshl_add_u64 v[8:9], v[8:9], 0, v[10:11]
	v_mul_hi_u32 v11, v5, v12
	v_mul_lo_u32 v12, v5, v12
	v_add_co_u32_e32 v8, vcc, v8, v12
	v_mul_hi_u32 v10, v5, v13
	s_nop 0
	v_addc_co_u32_e32 v8, vcc, v9, v11, vcc
	v_mov_b32_e32 v9, v4
	s_nop 0
	v_addc_co_u32_e32 v11, vcc, 0, v10, vcc
	v_mul_lo_u32 v10, v5, v13
	v_lshl_add_u64 v[8:9], v[8:9], 0, v[10:11]
	v_add_co_u32_e32 v1, vcc, v1, v8
	v_mul_lo_u32 v10, s2, v1
	s_nop 0
	v_addc_co_u32_e32 v5, vcc, v5, v9, vcc
	v_mul_lo_u32 v8, s2, v5
	v_mul_hi_u32 v9, s2, v1
	v_add_u32_e32 v8, v9, v8
	v_mul_lo_u32 v9, s3, v1
	v_add_u32_e32 v12, v8, v9
	v_mul_hi_u32 v14, v5, v10
	v_mul_lo_u32 v15, v5, v10
	v_mul_hi_u32 v9, v1, v12
	v_mul_lo_u32 v8, v1, v12
	v_mul_hi_u32 v10, v1, v10
	v_mov_b32_e32 v11, v4
	v_lshl_add_u64 v[8:9], v[10:11], 0, v[8:9]
	v_add_co_u32_e32 v8, vcc, v8, v15
	v_mul_hi_u32 v13, v5, v12
	s_nop 0
	v_addc_co_u32_e32 v8, vcc, v9, v14, vcc
	v_mul_lo_u32 v10, v5, v12
	s_nop 0
	v_addc_co_u32_e32 v11, vcc, 0, v13, vcc
	v_mov_b32_e32 v9, v4
	v_lshl_add_u64 v[8:9], v[8:9], 0, v[10:11]
	v_add_co_u32_e32 v1, vcc, v1, v8
	v_mul_hi_u32 v10, v6, v1
	s_nop 0
	v_addc_co_u32_e32 v5, vcc, v5, v9, vcc
	v_mad_u64_u32 v[8:9], s[2:3], v6, v5, 0
	v_mov_b32_e32 v11, v4
	v_lshl_add_u64 v[8:9], v[10:11], 0, v[8:9]
	v_mad_u64_u32 v[12:13], s[2:3], v7, v1, 0
	v_add_co_u32_e32 v1, vcc, v8, v12
	v_mad_u64_u32 v[10:11], s[2:3], v7, v5, 0
	s_nop 0
	v_addc_co_u32_e32 v8, vcc, v9, v13, vcc
	v_mov_b32_e32 v9, v4
	s_nop 0
	v_addc_co_u32_e32 v11, vcc, 0, v11, vcc
	v_lshl_add_u64 v[8:9], v[8:9], 0, v[10:11]
	v_mul_lo_u32 v1, s19, v8
	v_mul_lo_u32 v5, s18, v9
	v_mad_u64_u32 v[10:11], s[2:3], s18, v8, 0
	v_add3_u32 v1, v11, v5, v1
	v_sub_u32_e32 v5, v7, v1
	v_mov_b32_e32 v11, s19
	v_sub_co_u32_e32 v14, vcc, v6, v10
	v_lshl_add_u64 v[12:13], v[8:9], 0, 1
	s_nop 0
	v_subb_co_u32_e64 v5, s[2:3], v5, v11, vcc
	v_subrev_co_u32_e64 v10, s[2:3], s18, v14
	v_subb_co_u32_e32 v1, vcc, v7, v1, vcc
	s_nop 0
	v_subbrev_co_u32_e64 v5, s[2:3], 0, v5, s[2:3]
	v_cmp_le_u32_e64 s[2:3], s19, v5
	v_cmp_le_u32_e32 vcc, s19, v1
	s_nop 0
	v_cndmask_b32_e64 v11, 0, -1, s[2:3]
	v_cmp_le_u32_e64 s[2:3], s18, v10
	s_nop 1
	v_cndmask_b32_e64 v10, 0, -1, s[2:3]
	v_cmp_eq_u32_e64 s[2:3], s19, v5
	s_nop 1
	v_cndmask_b32_e64 v5, v11, v10, s[2:3]
	v_lshl_add_u64 v[10:11], v[8:9], 0, 2
	v_cmp_ne_u32_e64 s[2:3], 0, v5
	s_nop 1
	v_cndmask_b32_e64 v5, v13, v11, s[2:3]
	v_cndmask_b32_e64 v11, 0, -1, vcc
	v_cmp_le_u32_e32 vcc, s18, v14
	s_nop 1
	v_cndmask_b32_e64 v13, 0, -1, vcc
	v_cmp_eq_u32_e32 vcc, s19, v1
	s_nop 1
	v_cndmask_b32_e32 v1, v11, v13, vcc
	v_cmp_ne_u32_e32 vcc, 0, v1
	v_cndmask_b32_e64 v1, v12, v10, s[2:3]
	s_nop 0
	v_cndmask_b32_e32 v9, v9, v5, vcc
	v_cndmask_b32_e32 v8, v8, v1, vcc
.LBB0_4:                                ;   in Loop: Header=BB0_2 Depth=1
	s_andn2_saveexec_b64 s[2:3], s[20:21]
	s_cbranch_execz .LBB0_6
; %bb.5:                                ;   in Loop: Header=BB0_2 Depth=1
	v_cvt_f32_u32_e32 v1, s18
	s_sub_i32 s20, 0, s18
	v_rcp_iflag_f32_e32 v1, v1
	s_nop 0
	v_mul_f32_e32 v1, 0x4f7ffffe, v1
	v_cvt_u32_f32_e32 v1, v1
	v_mul_lo_u32 v5, s20, v1
	v_mul_hi_u32 v5, v1, v5
	v_add_u32_e32 v1, v1, v5
	v_mul_hi_u32 v1, v6, v1
	v_mul_lo_u32 v5, v1, s18
	v_sub_u32_e32 v5, v6, v5
	v_add_u32_e32 v8, 1, v1
	v_subrev_u32_e32 v9, s18, v5
	v_cmp_le_u32_e32 vcc, s18, v5
	s_nop 1
	v_cndmask_b32_e32 v5, v5, v9, vcc
	v_cndmask_b32_e32 v1, v1, v8, vcc
	v_add_u32_e32 v8, 1, v1
	v_cmp_le_u32_e32 vcc, s18, v5
	v_mov_b32_e32 v9, v4
	s_nop 0
	v_cndmask_b32_e32 v8, v1, v8, vcc
.LBB0_6:                                ;   in Loop: Header=BB0_2 Depth=1
	s_or_b64 exec, exec, s[2:3]
	v_mad_u64_u32 v[10:11], s[2:3], v8, s18, 0
	s_load_dwordx2 s[2:3], s[12:13], 0x0
	v_mul_lo_u32 v1, v9, s18
	v_mul_lo_u32 v5, v8, s19
	v_add3_u32 v1, v11, v5, v1
	v_sub_co_u32_e32 v5, vcc, v6, v10
	s_add_u32 s14, s14, 1
	s_nop 0
	v_subb_co_u32_e32 v1, vcc, v7, v1, vcc
	s_addc_u32 s15, s15, 0
	s_waitcnt lgkmcnt(0)
	v_mul_lo_u32 v1, s2, v1
	v_mul_lo_u32 v6, s3, v5
	v_mad_u64_u32 v[2:3], s[2:3], s2, v5, v[2:3]
	s_add_u32 s12, s12, 8
	v_add3_u32 v3, v6, v3, v1
	s_addc_u32 s13, s13, 0
	v_mov_b64_e32 v[6:7], s[6:7]
	s_add_u32 s16, s16, 8
	v_cmp_ge_u64_e32 vcc, s[14:15], v[6:7]
	s_addc_u32 s17, s17, 0
	s_cbranch_vccnz .LBB0_9
; %bb.7:                                ;   in Loop: Header=BB0_2 Depth=1
	v_mov_b64_e32 v[6:7], v[8:9]
	s_branch .LBB0_2
.LBB0_8:
	v_mov_b64_e32 v[8:9], v[6:7]
.LBB0_9:
	s_lshl_b64 s[2:3], s[6:7], 3
	s_add_u32 s2, s10, s2
	s_addc_u32 s3, s11, s3
	s_load_dwordx2 s[6:7], s[2:3], 0x0
	s_load_dwordx2 s[10:11], s[0:1], 0x20
	s_movk_i32 s2, 0xf3
	v_mov_b32_e32 v18, 0
	v_mov_b32_e32 v10, 0
	s_waitcnt lgkmcnt(0)
	v_mul_lo_u32 v1, s6, v9
	v_mul_lo_u32 v4, s7, v8
	v_mad_u64_u32 v[2:3], s[0:1], s6, v8, v[2:3]
	v_add3_u32 v3, v4, v3, v1
	v_mul_hi_u32_u24_e32 v1, 0xca4588, v0
	v_mul_u32_u24_e32 v1, 0x144, v1
	v_sub_u32_e32 v0, v0, v1
	v_cmp_gt_u64_e64 s[0:1], s[10:11], v[8:9]
	v_cmp_gt_u32_e64 s[2:3], s2, v0
	s_and_b64 s[10:11], s[0:1], s[2:3]
	v_mov_b32_e32 v4, 0
	v_lshl_add_u64 v[2:3], v[2:3], 2, s[8:9]
	v_mov_b32_e32 v1, 0
	v_mov_b32_e32 v20, 0
	;; [unrolled: 1-line block ×13, first 2 shown]
                                        ; implicit-def: $vgpr6
                                        ; implicit-def: $vgpr8
                                        ; implicit-def: $vgpr30
                                        ; implicit-def: $vgpr19
                                        ; implicit-def: $vgpr33
                                        ; implicit-def: $vgpr25
                                        ; implicit-def: $vgpr28
                                        ; implicit-def: $vgpr17
                                        ; implicit-def: $vgpr21
                                        ; implicit-def: $vgpr12
                                        ; implicit-def: $vgpr32
                                        ; implicit-def: $vgpr24
                                        ; implicit-def: $vgpr34
                                        ; implicit-def: $vgpr29
                                        ; implicit-def: $vgpr31
                                        ; implicit-def: $vgpr26
	s_and_saveexec_b64 s[6:7], s[10:11]
	s_cbranch_execz .LBB0_11
; %bb.10:
	v_mov_b32_e32 v1, 0
	v_lshl_add_u64 v[4:5], v[0:1], 2, v[2:3]
	s_movk_i32 s8, 0x1000
	v_add_co_u32_e32 v20, vcc, s8, v4
	s_movk_i32 s8, 0x2000
	s_nop 0
	v_addc_co_u32_e32 v21, vcc, 0, v5, vcc
	v_add_co_u32_e32 v22, vcc, s8, v4
	global_load_dword v1, v[4:5], off
	global_load_dword v10, v[4:5], off offset:972
	global_load_dword v13, v[4:5], off offset:1944
	;; [unrolled: 1-line block ×7, first 2 shown]
	v_addc_co_u32_e32 v23, vcc, 0, v5, vcc
	v_add_co_u32_e32 v4, vcc, 0x3000, v4
	s_waitcnt vmcnt(6)
	v_lshrrev_b32_e32 v18, 16, v10
	v_addc_co_u32_e32 v5, vcc, 0, v5, vcc
	global_load_dword v8, v[20:21], off offset:3680
	global_load_dword v19, v[22:23], off offset:556
	;; [unrolled: 1-line block ×8, first 2 shown]
	v_lshrrev_b32_e32 v4, 16, v1
	s_waitcnt vmcnt(13)
	v_lshrrev_b32_e32 v20, 16, v13
	s_waitcnt vmcnt(12)
	v_lshrrev_b32_e32 v16, 16, v9
	s_waitcnt vmcnt(11)
	v_lshrrev_b32_e32 v5, 16, v7
	s_waitcnt vmcnt(10)
	v_lshrrev_b32_e32 v23, 16, v11
	s_waitcnt vmcnt(9)
	v_lshrrev_b32_e32 v27, 16, v15
	s_waitcnt vmcnt(8)
	v_lshrrev_b32_e32 v22, 16, v14
	s_waitcnt vmcnt(7)
	v_lshrrev_b32_e32 v6, 16, v8
	s_waitcnt vmcnt(6)
	v_lshrrev_b32_e32 v30, 16, v19
	s_waitcnt vmcnt(5)
	v_lshrrev_b32_e32 v33, 16, v25
	s_waitcnt vmcnt(4)
	v_lshrrev_b32_e32 v28, 16, v17
	s_waitcnt vmcnt(3)
	v_lshrrev_b32_e32 v21, 16, v12
	s_waitcnt vmcnt(2)
	v_lshrrev_b32_e32 v32, 16, v24
	s_waitcnt vmcnt(1)
	v_lshrrev_b32_e32 v34, 16, v29
	s_waitcnt vmcnt(0)
	v_lshrrev_b32_e32 v31, 16, v26
.LBB0_11:
	s_or_b64 exec, exec, s[6:7]
	v_sub_f16_e32 v35, v13, v25
	v_sub_f16_e32 v29, v15, v29
	;; [unrolled: 1-line block ×5, first 2 shown]
	v_fma_f16 v13, v13, 2.0, -v35
	v_sub_f16_e32 v34, v27, v34
	v_fma_f16 v15, v15, 2.0, -v29
	v_sub_f16_e32 v30, v18, v30
	;; [unrolled: 2-line block ×3, first 2 shown]
	v_fma_f16 v11, v11, 2.0, -v24
	v_fma_f16 v20, v20, 2.0, -v33
	;; [unrolled: 1-line block ×5, first 2 shown]
	v_sub_f16_e32 v17, v9, v17
	v_sub_f16_e32 v36, v16, v28
	;; [unrolled: 1-line block ×5, first 2 shown]
	v_add_f16_e32 v15, v35, v34
	v_sub_f16_e32 v11, v10, v11
	v_fma_f16 v37, v9, 2.0, -v17
	v_fma_f16 v16, v16, 2.0, -v36
	;; [unrolled: 1-line block ×4, first 2 shown]
	v_sub_f16_e32 v28, v20, v27
	v_sub_f16_e32 v27, v33, v29
	v_fma_f16 v29, v35, 2.0, -v15
	v_sub_f16_e32 v23, v18, v23
	v_fma_f16 v9, v10, 2.0, -v11
	v_add_f16_e32 v10, v19, v32
	v_add_f16_e32 v35, v17, v31
	v_fma_f16 v26, v18, 2.0, -v23
	v_sub_f16_e32 v18, v30, v24
	v_fma_f16 v19, v19, 2.0, -v10
	v_sub_f16_e32 v14, v37, v14
	v_sub_f16_e32 v22, v16, v22
	;; [unrolled: 1-line block ×3, first 2 shown]
	v_fma_f16 v17, v17, 2.0, -v35
	s_mov_b32 s7, 0xb9a8
	v_fma_f16 v24, v30, 2.0, -v18
	v_fma_f16 v30, v37, 2.0, -v14
	;; [unrolled: 1-line block ×4, first 2 shown]
	s_movk_i32 s6, 0x39a8
	v_mul_f16_e32 v34, 0x39a8, v15
	v_fma_f16 v15, v17, s7, v19
	v_mul_f16_e32 v40, 0x39a8, v29
	v_sub_f16_e32 v29, v9, v30
	v_sub_f16_e32 v36, v26, v16
	v_fma_f16 v16, v31, s7, v24
	v_fma_f16 v30, v31, s6, v15
	v_fma_f16 v33, v33, 2.0, -v27
	v_fma_f16 v31, v17, s7, v16
	v_fma_f16 v37, v19, 2.0, -v30
	v_add_f16_e32 v15, v11, v22
	v_sub_f16_e32 v14, v23, v14
	v_fma_f16 v17, v35, s6, v10
	v_fma_f16 v19, v32, s6, v18
	v_mul_f16_e32 v42, 0x39a8, v33
	v_fma_f16 v11, v11, 2.0, -v15
	v_fma_f16 v16, v23, 2.0, -v14
	v_fma_f16 v32, v32, s6, v17
	v_fma_f16 v33, v35, s7, v19
	v_sub_f16_e32 v12, v7, v12
	v_sub_f16_e32 v21, v5, v21
	v_mul_f16_e32 v38, 0x39a8, v27
	v_fma_f16 v41, v24, 2.0, -v31
	v_fma_f16 v43, v10, 2.0, -v32
	;; [unrolled: 1-line block ×3, first 2 shown]
	v_mul_f16_e32 v45, 0x39a8, v11
	v_mul_f16_e32 v46, 0x39a8, v16
	;; [unrolled: 1-line block ×4, first 2 shown]
	s_and_saveexec_b64 s[6:7], s[2:3]
	s_cbranch_execz .LBB0_13
; %bb.12:
	v_sub_f16_e32 v8, v1, v8
	v_add_f16_e32 v10, v8, v21
	v_add_f16_e32 v11, v10, v34
	;; [unrolled: 1-line block ×3, first 2 shown]
	v_fma_f16 v1, v1, 2.0, -v8
	v_fma_f16 v7, v7, 2.0, -v12
	v_fma_f16 v14, v10, 2.0, -v11
	v_fma_f16 v10, v8, 2.0, -v10
	v_sub_f16_e32 v7, v1, v7
	v_sub_f16_e32 v16, v10, v40
	v_add_f16_e32 v8, v7, v28
	s_mov_b32 s8, 0xb61f
	v_add_f16_e32 v16, v42, v16
	s_movk_i32 s9, 0x361f
	v_fma_f16 v23, v7, 2.0, -v8
	v_fma_f16 v1, v1, 2.0, -v7
	;; [unrolled: 1-line block ×3, first 2 shown]
	v_fma_f16 v15, v43, s8, v14
	s_movk_i32 s8, 0x3b64
	v_fma_f16 v17, v30, s9, v16
	v_sub_f16_e32 v7, v1, v7
	v_fma_f16 v15, v44, s8, v15
	v_fma_f16 v17, v31, s8, v17
	;; [unrolled: 1-line block ×3, first 2 shown]
	v_add_f16_e32 v13, v7, v36
	v_fma_f16 v10, v10, 2.0, -v16
	s_mov_b32 s8, 0xbb64
	v_fma_f16 v22, v16, 2.0, -v17
	v_sub_f16_e32 v24, v23, v45
	v_fma_f16 v27, v7, 2.0, -v13
	v_fma_f16 v16, v37, s8, v10
	v_fma_f16 v1, v1, 2.0, -v7
	v_fma_f16 v7, v9, 2.0, -v29
	v_add_f16_e32 v19, v8, v35
	v_add_f16_e32 v24, v46, v24
	v_fma_f16 v16, v41, s9, v16
	v_sub_f16_e32 v7, v1, v7
	v_fma_f16 v18, v33, s9, v18
	v_add_f16_e32 v19, v39, v19
	v_fma_f16 v14, v14, 2.0, -v15
	v_fma_f16 v23, v23, 2.0, -v24
	;; [unrolled: 1-line block ×6, first 2 shown]
	v_lshl_add_u32 v9, v0, 5, 0
	v_pack_b32_f16 v1, v1, v10
	v_pack_b32_f16 v10, v23, v14
	ds_write2_b32 v9, v1, v10 offset1:1
	v_pack_b32_f16 v1, v27, v22
	v_pack_b32_f16 v8, v8, v11
	ds_write2_b32 v9, v1, v8 offset0:2 offset1:3
	v_pack_b32_f16 v1, v7, v16
	v_pack_b32_f16 v7, v24, v15
	ds_write2_b32 v9, v1, v7 offset0:4 offset1:5
	;; [unrolled: 3-line block ×3, first 2 shown]
.LBB0_13:
	s_or_b64 exec, exec, s[6:7]
	v_lshl_add_u32 v1, v0, 1, 0
	s_waitcnt lgkmcnt(0)
	s_barrier
	ds_read_u16 v15, v1
	ds_read_u16 v16, v1 offset:5832
	ds_read_u16 v17, v1 offset:3240
	;; [unrolled: 1-line block ×7, first 2 shown]
	v_add_u32_e32 v11, 0x3cc, v0
	v_add_u32_e32 v10, 0x288, v0
	v_lshl_add_u32 v9, v11, 1, 0
	v_lshl_add_u32 v8, v10, 1, 0
	ds_read_u16 v22, v1 offset:6480
	ds_read_u16 v7, v9
	ds_read_u16 v13, v8
	ds_read_u16 v23, v1 offset:7128
	s_waitcnt lgkmcnt(0)
	s_barrier
	s_and_saveexec_b64 s[6:7], s[2:3]
	s_cbranch_execz .LBB0_15
; %bb.14:
	v_sub_f16_e32 v6, v4, v6
	v_sub_f16_e32 v12, v6, v12
	v_fma_f16 v4, v4, 2.0, -v6
	v_fma_f16 v6, v6, 2.0, -v12
	;; [unrolled: 1-line block ×3, first 2 shown]
	v_sub_f16_e32 v21, v6, v42
	v_fma_f16 v20, v20, 2.0, -v28
	v_sub_f16_e32 v21, v21, v40
	v_add_f16_e32 v28, v12, v38
	v_sub_f16_e32 v5, v4, v5
	v_fma_f16 v6, v6, 2.0, -v21
	v_sub_f16_e32 v28, v28, v34
	s_mov_b32 s2, 0xbb64
	v_fma_f16 v4, v4, 2.0, -v5
	v_sub_f16_e32 v25, v5, v25
	v_fma_f16 v12, v12, 2.0, -v28
	v_fma_f16 v34, v41, s2, v6
	s_mov_b32 s3, 0xb61f
	s_movk_i32 s8, 0x361f
	v_sub_f16_e32 v20, v4, v20
	v_fma_f16 v5, v5, 2.0, -v25
	v_fma_f16 v34, v37, s3, v34
	v_fma_f16 v37, v44, s3, v12
	;; [unrolled: 1-line block ×3, first 2 shown]
	v_fma_f16 v4, v4, 2.0, -v20
	v_fma_f16 v26, v26, 2.0, -v36
	v_sub_f16_e32 v36, v5, v46
	v_fma_f16 v37, v43, s2, v37
	v_fma_f16 v30, v30, s2, v31
	s_movk_i32 s2, 0x3b64
	v_sub_f16_e32 v26, v4, v26
	v_sub_f16_e32 v36, v36, v45
	v_add_f16_e32 v31, v25, v39
	v_fma_f16 v33, v33, s2, v28
	v_fma_f16 v4, v4, 2.0, -v26
	v_fma_f16 v6, v6, 2.0, -v34
	;; [unrolled: 1-line block ×4, first 2 shown]
	v_sub_f16_e32 v29, v20, v29
	v_sub_f16_e32 v31, v31, v35
	v_fma_f16 v32, v32, s3, v33
	v_fma_f16 v20, v20, 2.0, -v29
	v_fma_f16 v21, v21, 2.0, -v30
	;; [unrolled: 1-line block ×4, first 2 shown]
	v_mad_u32_u24 v33, v0, 30, v1
	v_pack_b32_f16 v4, v4, v6
	v_pack_b32_f16 v5, v5, v12
	ds_write2_b32 v33, v4, v5 offset1:1
	v_pack_b32_f16 v4, v20, v21
	v_pack_b32_f16 v5, v25, v28
	ds_write2_b32 v33, v4, v5 offset0:2 offset1:3
	v_pack_b32_f16 v4, v26, v34
	v_pack_b32_f16 v5, v36, v37
	ds_write2_b32 v33, v4, v5 offset0:4 offset1:5
	;; [unrolled: 3-line block ×3, first 2 shown]
.LBB0_15:
	s_or_b64 exec, exec, s[6:7]
	v_and_b32_e32 v6, 15, v0
	v_add_u32_e32 v12, 0x144, v0
	v_lshlrev_b32_e32 v4, 3, v6
	v_and_b32_e32 v25, 15, v12
	s_waitcnt lgkmcnt(0)
	s_barrier
	global_load_dwordx2 v[4:5], v4, s[4:5]
	v_lshlrev_b32_e32 v20, 3, v25
	global_load_dwordx2 v[20:21], v20, s[4:5]
	v_and_b32_e32 v26, 15, v10
	v_lshlrev_b32_e32 v28, 3, v26
	global_load_dwordx2 v[28:29], v28, s[4:5]
	v_and_b32_e32 v32, 15, v11
	v_lshlrev_b32_e32 v30, 3, v32
	global_load_dwordx2 v[30:31], v30, s[4:5]
	ds_read_u16 v33, v1
	ds_read_u16 v34, v1 offset:5832
	ds_read_u16 v35, v1 offset:3240
	;; [unrolled: 1-line block ×8, first 2 shown]
	ds_read_u16 v42, v9
	ds_read_u16 v43, v8
	ds_read_u16 v44, v1 offset:7128
	s_mov_b32 s2, 0xbaee
	s_movk_i32 s3, 0x3aee
	s_waitcnt lgkmcnt(0)
	s_barrier
	s_mov_b32 s6, 0xaaab
	s_movk_i32 s7, 0x120
	s_waitcnt vmcnt(3)
	v_mul_f16_sdwa v45, v39, v4 dst_sel:DWORD dst_unused:UNUSED_PAD src0_sel:DWORD src1_sel:WORD_1
	v_mul_f16_sdwa v46, v27, v4 dst_sel:DWORD dst_unused:UNUSED_PAD src0_sel:DWORD src1_sel:WORD_1
	;; [unrolled: 1-line block ×4, first 2 shown]
	v_fma_f16 v27, v27, v4, v45
	v_fma_f16 v4, v39, v4, -v46
	v_fma_f16 v24, v24, v5, v47
	v_fma_f16 v5, v37, v5, -v48
	s_waitcnt vmcnt(2)
	v_mul_f16_sdwa v37, v35, v20 dst_sel:DWORD dst_unused:UNUSED_PAD src0_sel:DWORD src1_sel:WORD_1
	v_mul_f16_sdwa v39, v17, v20 dst_sel:DWORD dst_unused:UNUSED_PAD src0_sel:DWORD src1_sel:WORD_1
	;; [unrolled: 1-line block ×4, first 2 shown]
	s_waitcnt vmcnt(1)
	v_mul_f16_sdwa v47, v36, v28 dst_sel:DWORD dst_unused:UNUSED_PAD src0_sel:DWORD src1_sel:WORD_1
	v_mul_f16_sdwa v48, v18, v28 dst_sel:DWORD dst_unused:UNUSED_PAD src0_sel:DWORD src1_sel:WORD_1
	v_mul_f16_sdwa v49, v41, v29 dst_sel:DWORD dst_unused:UNUSED_PAD src0_sel:DWORD src1_sel:WORD_1
	v_fma_f16 v17, v17, v20, v37
	v_fma_f16 v20, v35, v20, -v39
	v_fma_f16 v16, v16, v21, v45
	v_fma_f16 v21, v34, v21, -v46
	v_add_f16_e32 v34, v15, v27
	v_add_f16_e32 v35, v27, v24
	;; [unrolled: 1-line block ×3, first 2 shown]
	v_mul_f16_sdwa v50, v22, v29 dst_sel:DWORD dst_unused:UNUSED_PAD src0_sel:DWORD src1_sel:WORD_1
	v_fma_f16 v18, v18, v28, v47
	v_fma_f16 v28, v36, v28, -v48
	v_fma_f16 v22, v22, v29, v49
	v_sub_f16_e32 v36, v4, v5
	v_add_f16_e32 v4, v4, v5
	v_sub_f16_e32 v27, v27, v24
	v_add_f16_e32 v24, v34, v24
	v_fma_f16 v15, v35, -0.5, v15
	v_add_f16_e32 v5, v37, v5
	v_add_f16_e32 v34, v17, v16
	v_sub_f16_e32 v35, v20, v21
	v_add_f16_e32 v37, v40, v20
	v_add_f16_e32 v20, v20, v21
	v_fma_f16 v29, v41, v29, -v50
	v_fma_f16 v4, v4, -0.5, v33
	v_add_f16_e32 v33, v14, v17
	v_sub_f16_e32 v17, v17, v16
	v_fma_f16 v14, v34, -0.5, v14
	v_fma_f16 v20, v20, -0.5, v40
	v_add_f16_e32 v34, v18, v22
	s_waitcnt vmcnt(0)
	v_mul_f16_sdwa v51, v38, v30 dst_sel:DWORD dst_unused:UNUSED_PAD src0_sel:DWORD src1_sel:WORD_1
	v_mul_f16_sdwa v52, v19, v30 dst_sel:DWORD dst_unused:UNUSED_PAD src0_sel:DWORD src1_sel:WORD_1
	;; [unrolled: 1-line block ×3, first 2 shown]
	v_add_f16_e32 v16, v33, v16
	v_fma_f16 v33, v17, s3, v20
	v_fma_f16 v17, v17, s2, v20
	v_add_f16_e32 v20, v13, v18
	v_fma_f16 v13, v34, -0.5, v13
	v_sub_f16_e32 v34, v28, v29
	v_mul_f16_sdwa v54, v23, v31 dst_sel:DWORD dst_unused:UNUSED_PAD src0_sel:DWORD src1_sel:WORD_1
	v_fma_f16 v19, v19, v30, v51
	v_fma_f16 v30, v38, v30, -v52
	v_fma_f16 v23, v23, v31, v53
	v_fma_f16 v38, v36, s2, v15
	;; [unrolled: 1-line block ×9, first 2 shown]
	v_add_f16_e32 v34, v43, v28
	v_add_f16_e32 v28, v28, v29
	v_fma_f16 v31, v44, v31, -v54
	v_add_f16_e32 v34, v34, v29
	v_fma_f16 v28, v28, -0.5, v43
	v_sub_f16_e32 v18, v18, v22
	v_add_f16_e32 v29, v19, v23
	v_add_f16_e32 v20, v20, v22
	v_fma_f16 v22, v18, s3, v28
	v_fma_f16 v18, v18, s2, v28
	v_add_f16_e32 v28, v7, v19
	v_fma_f16 v7, v29, -0.5, v7
	v_sub_f16_e32 v29, v30, v31
	v_add_f16_e32 v21, v37, v21
	v_fma_f16 v37, v29, s2, v7
	v_fma_f16 v7, v29, s3, v7
	v_add_f16_e32 v29, v42, v30
	v_add_f16_e32 v30, v30, v31
	v_fma_f16 v30, v30, -0.5, v42
	v_sub_f16_e32 v19, v19, v23
	v_add_f16_e32 v28, v28, v23
	v_fma_f16 v23, v19, s3, v30
	v_fma_f16 v19, v19, s2, v30
	v_lshrrev_b32_e32 v30, 4, v0
	v_mul_u32_u24_e32 v30, 48, v30
	v_or_b32_e32 v6, v30, v6
	v_lshl_add_u32 v6, v6, 1, 0
	ds_write_b16 v6, v24
	ds_write_b16 v6, v38 offset:32
	ds_write_b16 v6, v15 offset:64
	v_lshrrev_b32_e32 v15, 4, v12
	v_mul_u32_u24_e32 v15, 48, v15
	v_or_b32_e32 v15, v15, v25
	v_lshl_add_u32 v15, v15, 1, 0
	ds_write_b16 v15, v16
	ds_write_b16 v15, v27 offset:32
	ds_write_b16 v15, v14 offset:64
	;; [unrolled: 7-line block ×3, first 2 shown]
	v_lshrrev_b32_e32 v13, 4, v11
	v_mul_u32_u24_e32 v13, 48, v13
	v_or_b32_e32 v13, v13, v32
	v_lshl_add_u32 v13, v13, 1, 0
	v_add_f16_e32 v29, v29, v31
	ds_write_b16 v13, v28
	ds_write_b16 v13, v37 offset:32
	ds_write_b16 v13, v7 offset:64
	s_waitcnt lgkmcnt(0)
	s_barrier
	ds_read_u16 v20, v1
	ds_read_u16 v24, v1 offset:5832
	ds_read_u16 v25, v1 offset:3240
	;; [unrolled: 1-line block ×8, first 2 shown]
	ds_read_u16 v35, v9
	ds_read_u16 v37, v8
	ds_read_u16 v38, v1 offset:7128
	s_waitcnt lgkmcnt(0)
	s_barrier
	ds_write_b16 v6, v5
	ds_write_b16 v6, v36 offset:32
	ds_write_b16 v6, v4 offset:64
	ds_write_b16 v15, v21
	ds_write_b16 v15, v33 offset:32
	ds_write_b16 v15, v17 offset:64
	;; [unrolled: 3-line block ×4, first 2 shown]
	v_mul_u32_u24_sdwa v4, v0, s6 dst_sel:DWORD dst_unused:UNUSED_PAD src0_sel:WORD_0 src1_sel:DWORD
	v_lshrrev_b32_e32 v13, 21, v4
	v_mul_lo_u16_e32 v4, 48, v13
	v_sub_u16_e32 v18, v0, v4
	v_lshlrev_b32_e32 v4, 3, v18
	v_mul_u32_u24_sdwa v6, v12, s6 dst_sel:DWORD dst_unused:UNUSED_PAD src0_sel:WORD_0 src1_sel:DWORD
	s_waitcnt lgkmcnt(0)
	s_barrier
	global_load_dwordx2 v[4:5], v4, s[4:5] offset:128
	v_lshrrev_b32_e32 v19, 21, v6
	v_mul_lo_u16_e32 v6, 48, v19
	v_sub_u16_e32 v21, v12, v6
	v_lshlrev_b32_e32 v6, 3, v21
	global_load_dwordx2 v[6:7], v6, s[4:5] offset:128
	v_mul_u32_u24_sdwa v14, v10, s6 dst_sel:DWORD dst_unused:UNUSED_PAD src0_sel:WORD_0 src1_sel:DWORD
	v_lshrrev_b32_e32 v22, 21, v14
	v_mul_lo_u16_e32 v14, 48, v22
	v_sub_u16_e32 v23, v10, v14
	v_lshlrev_b32_e32 v14, 3, v23
	global_load_dwordx2 v[14:15], v14, s[4:5] offset:128
	v_mul_u32_u24_sdwa v16, v11, s6 dst_sel:DWORD dst_unused:UNUSED_PAD src0_sel:WORD_0 src1_sel:DWORD
	v_lshrrev_b32_e32 v29, 21, v16
	v_mul_lo_u16_e32 v16, 48, v29
	v_sub_u16_e32 v33, v11, v16
	v_lshlrev_b32_e32 v16, 3, v33
	global_load_dwordx2 v[16:17], v16, s[4:5] offset:128
	ds_read_u16 v34, v1
	ds_read_u16 v36, v1 offset:5832
	ds_read_u16 v39, v1 offset:3240
	;; [unrolled: 1-line block ×8, first 2 shown]
	ds_read_u16 v46, v9
	ds_read_u16 v47, v8
	ds_read_u16 v48, v1 offset:7128
	s_mov_b32 s6, 0x5040100
	v_perm_b32 v13, v19, v13, s6
	v_pk_mul_lo_u16 v13, v13, s7 op_sel_hi:[1,0]
	v_lshlrev_b32_e32 v18, 1, v18
	v_lshlrev_b32_e32 v21, 1, v21
	s_waitcnt lgkmcnt(0)
	s_barrier
	v_lshlrev_b32_e32 v23, 1, v23
	s_waitcnt vmcnt(3)
	v_mul_f16_sdwa v49, v43, v4 dst_sel:DWORD dst_unused:UNUSED_PAD src0_sel:DWORD src1_sel:WORD_1
	v_fma_f16 v49, v30, v4, v49
	v_mul_f16_sdwa v30, v30, v4 dst_sel:DWORD dst_unused:UNUSED_PAD src0_sel:DWORD src1_sel:WORD_1
	v_fma_f16 v4, v43, v4, -v30
	v_mul_f16_sdwa v30, v41, v5 dst_sel:DWORD dst_unused:UNUSED_PAD src0_sel:DWORD src1_sel:WORD_1
	v_fma_f16 v30, v27, v5, v30
	v_mul_f16_sdwa v27, v27, v5 dst_sel:DWORD dst_unused:UNUSED_PAD src0_sel:DWORD src1_sel:WORD_1
	v_fma_f16 v5, v41, v5, -v27
	s_waitcnt vmcnt(2)
	v_mul_f16_sdwa v27, v39, v6 dst_sel:DWORD dst_unused:UNUSED_PAD src0_sel:DWORD src1_sel:WORD_1
	v_fma_f16 v27, v25, v6, v27
	v_mul_f16_sdwa v25, v25, v6 dst_sel:DWORD dst_unused:UNUSED_PAD src0_sel:DWORD src1_sel:WORD_1
	v_fma_f16 v6, v39, v6, -v25
	v_mul_f16_sdwa v25, v36, v7 dst_sel:DWORD dst_unused:UNUSED_PAD src0_sel:DWORD src1_sel:WORD_1
	v_fma_f16 v25, v24, v7, v25
	v_mul_f16_sdwa v24, v24, v7 dst_sel:DWORD dst_unused:UNUSED_PAD src0_sel:DWORD src1_sel:WORD_1
	v_fma_f16 v7, v36, v7, -v24
	;; [unrolled: 9-line block ×3, first 2 shown]
	v_lshlrev_b32_e32 v32, 1, v33
	s_waitcnt vmcnt(0)
	v_mul_f16_sdwa v33, v42, v16 dst_sel:DWORD dst_unused:UNUSED_PAD src0_sel:DWORD src1_sel:WORD_1
	v_fma_f16 v33, v28, v16, v33
	v_mul_f16_sdwa v28, v28, v16 dst_sel:DWORD dst_unused:UNUSED_PAD src0_sel:DWORD src1_sel:WORD_1
	v_fma_f16 v16, v42, v16, -v28
	v_mul_f16_sdwa v28, v48, v17 dst_sel:DWORD dst_unused:UNUSED_PAD src0_sel:DWORD src1_sel:WORD_1
	v_fma_f16 v28, v38, v17, v28
	v_mul_f16_sdwa v36, v38, v17 dst_sel:DWORD dst_unused:UNUSED_PAD src0_sel:DWORD src1_sel:WORD_1
	v_add_f16_e32 v38, v49, v30
	v_fma_f16 v17, v48, v17, -v36
	v_add_f16_e32 v36, v20, v49
	v_fma_f16 v20, v38, -0.5, v20
	v_sub_f16_e32 v38, v4, v5
	v_fma_f16 v39, v38, s2, v20
	v_fma_f16 v20, v38, s3, v20
	v_add_f16_e32 v38, v34, v4
	v_add_f16_e32 v4, v4, v5
	;; [unrolled: 1-line block ×3, first 2 shown]
	v_fma_f16 v4, v4, -0.5, v34
	v_sub_f16_e32 v5, v49, v30
	v_add_f16_e32 v34, v27, v25
	v_add_f16_e32 v36, v36, v30
	v_fma_f16 v30, v5, s3, v4
	v_fma_f16 v4, v5, s2, v4
	v_add_f16_e32 v5, v31, v27
	v_fma_f16 v31, v34, -0.5, v31
	v_sub_f16_e32 v34, v6, v7
	v_fma_f16 v40, v34, s2, v31
	v_fma_f16 v31, v34, s3, v31
	v_add_f16_e32 v34, v44, v6
	v_add_f16_e32 v6, v6, v7
	;; [unrolled: 1-line block ×3, first 2 shown]
	v_fma_f16 v6, v6, -0.5, v44
	v_sub_f16_e32 v7, v27, v25
	v_add_f16_e32 v27, v24, v26
	v_add_f16_e32 v5, v5, v25
	v_fma_f16 v25, v7, s3, v6
	v_fma_f16 v6, v7, s2, v6
	v_add_f16_e32 v7, v37, v24
	v_fma_f16 v27, v27, -0.5, v37
	v_sub_f16_e32 v37, v14, v15
	v_fma_f16 v41, v37, s2, v27
	v_fma_f16 v27, v37, s3, v27
	v_add_f16_e32 v37, v47, v14
	v_add_f16_e32 v14, v14, v15
	;; [unrolled: 1-line block ×4, first 2 shown]
	v_fma_f16 v14, v14, -0.5, v47
	v_sub_f16_e32 v15, v24, v26
	v_add_f16_e32 v26, v33, v28
	v_fma_f16 v24, v15, s3, v14
	v_fma_f16 v14, v15, s2, v14
	v_add_f16_e32 v15, v35, v33
	v_fma_f16 v26, v26, -0.5, v35
	v_sub_f16_e32 v35, v16, v17
	v_fma_f16 v42, v35, s2, v26
	v_fma_f16 v26, v35, s3, v26
	v_add_f16_e32 v35, v46, v16
	v_add_f16_e32 v16, v16, v17
	;; [unrolled: 1-line block ×3, first 2 shown]
	v_fma_f16 v16, v16, -0.5, v46
	v_sub_f16_e32 v17, v33, v28
	v_add_f16_e32 v15, v15, v28
	v_fma_f16 v28, v17, s3, v16
	v_fma_f16 v16, v17, s2, v16
	v_and_b32_e32 v17, 0xffe0, v13
	v_lshrrev_b32_e32 v13, 16, v13
	v_add3_u32 v17, 0, v17, v18
	v_add3_u32 v13, 0, v13, v21
	ds_write_b16 v17, v36
	ds_write_b16 v17, v39 offset:96
	ds_write_b16 v17, v20 offset:192
	ds_write_b16 v13, v5
	ds_write_b16 v13, v40 offset:96
	ds_write_b16 v13, v31 offset:192
	v_perm_b32 v5, v29, v22, s6
	v_pk_mul_lo_u16 v5, v5, s7 op_sel_hi:[1,0]
	s_mov_b32 s7, 0xe38f
	v_and_b32_e32 v18, 0xffe0, v5
	v_lshrrev_b32_e32 v5, 16, v5
	v_add3_u32 v18, 0, v18, v23
	v_add3_u32 v5, 0, v5, v32
	ds_write_b16 v18, v7
	ds_write_b16 v18, v41 offset:96
	ds_write_b16 v18, v27 offset:192
	ds_write_b16 v5, v15
	ds_write_b16 v5, v42 offset:96
	ds_write_b16 v5, v26 offset:192
	s_waitcnt lgkmcnt(0)
	s_barrier
	ds_read_u16 v19, v1
	ds_read_u16 v20, v1 offset:5832
	ds_read_u16 v21, v1 offset:3240
	ds_read_u16 v22, v1 offset:3888
	ds_read_u16 v23, v1 offset:5184
	ds_read_u16 v26, v1 offset:4536
	ds_read_u16 v27, v1 offset:2592
	ds_read_u16 v29, v1 offset:648
	ds_read_u16 v31, v1 offset:6480
	ds_read_u16 v32, v9
	ds_read_u16 v33, v8
	ds_read_u16 v36, v1 offset:7128
	s_waitcnt lgkmcnt(0)
	s_barrier
	ds_write_b16 v17, v38
	ds_write_b16 v17, v30 offset:96
	ds_write_b16 v17, v4 offset:192
	ds_write_b16 v13, v34
	ds_write_b16 v13, v25 offset:96
	ds_write_b16 v13, v6 offset:192
	;; [unrolled: 3-line block ×4, first 2 shown]
	v_mul_u32_u24_sdwa v4, v0, s7 dst_sel:DWORD dst_unused:UNUSED_PAD src0_sel:WORD_0 src1_sel:DWORD
	v_lshrrev_b32_e32 v13, 23, v4
	v_mul_lo_u16_e32 v4, 0x90, v13
	v_sub_u16_e32 v18, v0, v4
	v_lshlrev_b32_e32 v4, 3, v18
	v_mul_u32_u24_sdwa v6, v12, s7 dst_sel:DWORD dst_unused:UNUSED_PAD src0_sel:WORD_0 src1_sel:DWORD
	s_waitcnt lgkmcnt(0)
	s_barrier
	global_load_dwordx2 v[4:5], v4, s[4:5] offset:512
	v_lshrrev_b32_e32 v24, 23, v6
	v_mul_lo_u16_e32 v6, 0x90, v24
	v_sub_u16_e32 v25, v12, v6
	v_lshlrev_b32_e32 v6, 3, v25
	global_load_dwordx2 v[6:7], v6, s[4:5] offset:512
	v_mul_u32_u24_sdwa v14, v10, s7 dst_sel:DWORD dst_unused:UNUSED_PAD src0_sel:WORD_0 src1_sel:DWORD
	v_lshrrev_b32_e32 v28, 23, v14
	v_mul_lo_u16_e32 v14, 0x90, v28
	v_sub_u16_e32 v30, v10, v14
	v_lshlrev_b32_e32 v14, 3, v30
	global_load_dwordx2 v[14:15], v14, s[4:5] offset:512
	v_mul_u32_u24_sdwa v16, v11, s7 dst_sel:DWORD dst_unused:UNUSED_PAD src0_sel:WORD_0 src1_sel:DWORD
	v_lshrrev_b32_e32 v34, 23, v16
	v_mul_lo_u16_e32 v16, 0x90, v34
	v_sub_u16_e32 v35, v11, v16
	v_lshlrev_b32_e32 v16, 3, v35
	global_load_dwordx2 v[16:17], v16, s[4:5] offset:512
	ds_read_u16 v37, v1
	ds_read_u16 v38, v1 offset:5832
	ds_read_u16 v39, v1 offset:3240
	;; [unrolled: 1-line block ×8, first 2 shown]
	ds_read_u16 v46, v9
	ds_read_u16 v47, v8
	ds_read_u16 v48, v1 offset:7128
	v_perm_b32 v13, v24, v13, s6
	s_movk_i32 s7, 0x360
	v_pk_mul_lo_u16 v13, v13, s7 op_sel_hi:[1,0]
	v_lshlrev_b32_e32 v18, 1, v18
	s_waitcnt lgkmcnt(0)
	s_barrier
	s_waitcnt vmcnt(3)
	v_mul_f16_sdwa v49, v43, v4 dst_sel:DWORD dst_unused:UNUSED_PAD src0_sel:DWORD src1_sel:WORD_1
	v_fma_f16 v49, v27, v4, v49
	v_mul_f16_sdwa v27, v27, v4 dst_sel:DWORD dst_unused:UNUSED_PAD src0_sel:DWORD src1_sel:WORD_1
	v_fma_f16 v4, v43, v4, -v27
	v_mul_f16_sdwa v27, v41, v5 dst_sel:DWORD dst_unused:UNUSED_PAD src0_sel:DWORD src1_sel:WORD_1
	v_fma_f16 v27, v23, v5, v27
	v_mul_f16_sdwa v23, v23, v5 dst_sel:DWORD dst_unused:UNUSED_PAD src0_sel:DWORD src1_sel:WORD_1
	v_fma_f16 v5, v41, v5, -v23
	v_lshlrev_b32_e32 v23, 1, v25
	s_waitcnt vmcnt(2)
	v_mul_f16_sdwa v25, v39, v6 dst_sel:DWORD dst_unused:UNUSED_PAD src0_sel:DWORD src1_sel:WORD_1
	v_fma_f16 v25, v21, v6, v25
	v_mul_f16_sdwa v21, v21, v6 dst_sel:DWORD dst_unused:UNUSED_PAD src0_sel:DWORD src1_sel:WORD_1
	v_fma_f16 v6, v39, v6, -v21
	v_mul_f16_sdwa v21, v38, v7 dst_sel:DWORD dst_unused:UNUSED_PAD src0_sel:DWORD src1_sel:WORD_1
	v_fma_f16 v21, v20, v7, v21
	v_mul_f16_sdwa v20, v20, v7 dst_sel:DWORD dst_unused:UNUSED_PAD src0_sel:DWORD src1_sel:WORD_1
	v_fma_f16 v7, v38, v7, -v20
	v_lshlrev_b32_e32 v20, 1, v30
	;; [unrolled: 10-line block ×3, first 2 shown]
	s_waitcnt vmcnt(0)
	v_mul_f16_sdwa v35, v42, v16 dst_sel:DWORD dst_unused:UNUSED_PAD src0_sel:DWORD src1_sel:WORD_1
	v_fma_f16 v35, v26, v16, v35
	v_mul_f16_sdwa v26, v26, v16 dst_sel:DWORD dst_unused:UNUSED_PAD src0_sel:DWORD src1_sel:WORD_1
	v_fma_f16 v16, v42, v16, -v26
	v_mul_f16_sdwa v26, v48, v17 dst_sel:DWORD dst_unused:UNUSED_PAD src0_sel:DWORD src1_sel:WORD_1
	v_fma_f16 v26, v36, v17, v26
	v_mul_f16_sdwa v36, v36, v17 dst_sel:DWORD dst_unused:UNUSED_PAD src0_sel:DWORD src1_sel:WORD_1
	v_add_f16_e32 v38, v49, v27
	v_fma_f16 v17, v48, v17, -v36
	v_add_f16_e32 v36, v19, v49
	v_fma_f16 v19, v38, -0.5, v19
	v_sub_f16_e32 v38, v4, v5
	v_fma_f16 v39, v38, s2, v19
	v_fma_f16 v19, v38, s3, v19
	v_add_f16_e32 v38, v37, v4
	v_add_f16_e32 v4, v4, v5
	v_add_f16_e32 v38, v38, v5
	v_fma_f16 v4, v4, -0.5, v37
	v_sub_f16_e32 v5, v49, v27
	v_add_f16_e32 v37, v25, v21
	v_add_f16_e32 v36, v36, v27
	v_fma_f16 v27, v5, s3, v4
	v_fma_f16 v4, v5, s2, v4
	v_add_f16_e32 v5, v29, v25
	v_fma_f16 v29, v37, -0.5, v29
	v_sub_f16_e32 v37, v6, v7
	v_fma_f16 v40, v37, s2, v29
	v_fma_f16 v29, v37, s3, v29
	v_add_f16_e32 v37, v44, v6
	v_add_f16_e32 v6, v6, v7
	v_add_f16_e32 v37, v37, v7
	v_fma_f16 v6, v6, -0.5, v44
	v_sub_f16_e32 v7, v25, v21
	v_add_f16_e32 v25, v30, v22
	v_add_f16_e32 v5, v5, v21
	v_fma_f16 v21, v7, s3, v6
	v_fma_f16 v6, v7, s2, v6
	;; [unrolled: 14-line block ×3, first 2 shown]
	v_add_f16_e32 v15, v32, v35
	v_fma_f16 v30, v30, -0.5, v32
	v_sub_f16_e32 v32, v16, v17
	v_fma_f16 v42, v32, s2, v30
	v_fma_f16 v30, v32, s3, v30
	v_add_f16_e32 v32, v46, v16
	v_add_f16_e32 v16, v16, v17
	;; [unrolled: 1-line block ×3, first 2 shown]
	v_fma_f16 v16, v16, -0.5, v46
	v_sub_f16_e32 v17, v35, v26
	v_add_f16_e32 v15, v15, v26
	v_fma_f16 v26, v17, s3, v16
	v_fma_f16 v16, v17, s2, v16
	v_and_b32_e32 v17, 0xffe0, v13
	v_lshrrev_b32_e32 v13, 16, v13
	v_add3_u32 v17, 0, v17, v18
	v_add3_u32 v13, 0, v13, v23
	ds_write_b16 v17, v36
	ds_write_b16 v17, v39 offset:288
	ds_write_b16 v17, v19 offset:576
	ds_write_b16 v13, v5
	ds_write_b16 v13, v40 offset:288
	ds_write_b16 v13, v29 offset:576
	v_perm_b32 v5, v34, v28, s6
	v_pk_mul_lo_u16 v5, v5, s7 op_sel_hi:[1,0]
	s_movk_i32 s6, 0x6c
	v_and_b32_e32 v18, 0xffe0, v5
	v_lshrrev_b32_e32 v5, 16, v5
	v_add3_u32 v18, 0, v18, v20
	v_add3_u32 v5, 0, v5, v31
	ds_write_b16 v18, v7
	ds_write_b16 v18, v41 offset:288
	ds_write_b16 v18, v25 offset:576
	ds_write_b16 v5, v15
	ds_write_b16 v5, v42 offset:288
	ds_write_b16 v5, v30 offset:576
	s_waitcnt lgkmcnt(0)
	s_barrier
	ds_read_u16 v23, v1
	ds_read_u16 v24, v1 offset:5832
	ds_read_u16 v25, v1 offset:3240
	;; [unrolled: 1-line block ×8, first 2 shown]
	ds_read_u16 v36, v9
	ds_read_u16 v39, v8
	ds_read_u16 v40, v1 offset:7128
	s_waitcnt lgkmcnt(0)
	s_barrier
	ds_write_b16 v17, v38
	ds_write_b16 v17, v27 offset:288
	ds_write_b16 v17, v4 offset:576
	ds_write_b16 v13, v37
	ds_write_b16 v13, v21 offset:288
	ds_write_b16 v13, v6 offset:576
	;; [unrolled: 3-line block ×4, first 2 shown]
	v_lshlrev_b32_e32 v4, 1, v0
	v_mov_b32_e32 v5, 0
	v_lshl_add_u64 v[6:7], v[4:5], 2, s[4:5]
	s_waitcnt lgkmcnt(0)
	s_barrier
	global_load_dwordx2 v[14:15], v[6:7], off offset:1664
	v_add_u32_e32 v4, 0xffffff94, v0
	v_cmp_gt_u32_e32 vcc, s6, v0
	v_lshrrev_b16_e32 v13, 4, v10
	v_mul_u32_u24_e32 v13, 0x12f7, v13
	v_cndmask_b32_e32 v4, v4, v12, vcc
	v_lshlrev_b32_e32 v4, 1, v4
	v_lshl_add_u64 v[16:17], v[4:5], 2, s[4:5]
	global_load_dwordx2 v[16:17], v[16:17], off offset:1664
	v_lshrrev_b32_e32 v13, 17, v13
	v_mul_lo_u16_e32 v18, 0x1b0, v13
	v_lshrrev_b16_e32 v20, 4, v11
	v_sub_u16_e32 v22, v10, v18
	v_mul_u32_u24_e32 v20, 0x12f7, v20
	v_lshlrev_b32_e32 v18, 3, v22
	v_lshrrev_b32_e32 v20, 17, v20
	global_load_dwordx2 v[18:19], v18, s[4:5] offset:1664
	v_mul_lo_u16_e32 v20, 0x1b0, v20
	v_sub_u16_e32 v26, v11, v20
	v_lshlrev_b32_e32 v20, 3, v26
	global_load_dwordx2 v[20:21], v20, s[4:5] offset:1664
	ds_read_u16 v27, v1
	ds_read_u16 v32, v1 offset:5832
	ds_read_u16 v33, v1 offset:3240
	;; [unrolled: 1-line block ×8, first 2 shown]
	ds_read_u16 v45, v9
	ds_read_u16 v46, v8
	ds_read_u16 v47, v1 offset:7128
	s_movk_i32 s6, 0x6b
	v_cmp_lt_u32_e32 vcc, s6, v0
	v_lshlrev_b32_e32 v22, 1, v22
	v_mul_u32_u24_e32 v13, 0xa20, v13
	s_waitcnt lgkmcnt(0)
	s_barrier
	v_lshl_add_u32 v26, v26, 1, 0
	s_waitcnt vmcnt(3)
	v_mul_f16_sdwa v48, v42, v14 dst_sel:DWORD dst_unused:UNUSED_PAD src0_sel:DWORD src1_sel:WORD_1
	v_fma_f16 v48, v31, v14, v48
	v_mul_f16_sdwa v31, v31, v14 dst_sel:DWORD dst_unused:UNUSED_PAD src0_sel:DWORD src1_sel:WORD_1
	v_fma_f16 v14, v42, v14, -v31
	v_mul_f16_sdwa v31, v38, v15 dst_sel:DWORD dst_unused:UNUSED_PAD src0_sel:DWORD src1_sel:WORD_1
	v_fma_f16 v31, v29, v15, v31
	v_mul_f16_sdwa v29, v29, v15 dst_sel:DWORD dst_unused:UNUSED_PAD src0_sel:DWORD src1_sel:WORD_1
	v_fma_f16 v15, v38, v15, -v29
	s_waitcnt vmcnt(2)
	v_mul_f16_sdwa v29, v33, v16 dst_sel:DWORD dst_unused:UNUSED_PAD src0_sel:DWORD src1_sel:WORD_1
	v_fma_f16 v29, v25, v16, v29
	v_mul_f16_sdwa v25, v25, v16 dst_sel:DWORD dst_unused:UNUSED_PAD src0_sel:DWORD src1_sel:WORD_1
	v_fma_f16 v16, v33, v16, -v25
	v_mul_f16_sdwa v25, v32, v17 dst_sel:DWORD dst_unused:UNUSED_PAD src0_sel:DWORD src1_sel:WORD_1
	v_fma_f16 v25, v24, v17, v25
	v_mul_f16_sdwa v24, v24, v17 dst_sel:DWORD dst_unused:UNUSED_PAD src0_sel:DWORD src1_sel:WORD_1
	v_fma_f16 v17, v32, v17, -v24
	s_waitcnt vmcnt(1)
	v_mul_f16_sdwa v24, v37, v18 dst_sel:DWORD dst_unused:UNUSED_PAD src0_sel:DWORD src1_sel:WORD_1
	v_fma_f16 v24, v28, v18, v24
	v_mul_f16_sdwa v28, v28, v18 dst_sel:DWORD dst_unused:UNUSED_PAD src0_sel:DWORD src1_sel:WORD_1
	v_fma_f16 v18, v37, v18, -v28
	v_mul_f16_sdwa v28, v44, v19 dst_sel:DWORD dst_unused:UNUSED_PAD src0_sel:DWORD src1_sel:WORD_1
	v_mul_f16_sdwa v32, v35, v19 dst_sel:DWORD dst_unused:UNUSED_PAD src0_sel:DWORD src1_sel:WORD_1
	v_fma_f16 v28, v35, v19, v28
	v_fma_f16 v19, v44, v19, -v32
	s_waitcnt vmcnt(0)
	v_mul_f16_sdwa v32, v41, v20 dst_sel:DWORD dst_unused:UNUSED_PAD src0_sel:DWORD src1_sel:WORD_1
	v_fma_f16 v32, v30, v20, v32
	v_mul_f16_sdwa v30, v30, v20 dst_sel:DWORD dst_unused:UNUSED_PAD src0_sel:DWORD src1_sel:WORD_1
	v_fma_f16 v20, v41, v20, -v30
	v_mul_f16_sdwa v30, v47, v21 dst_sel:DWORD dst_unused:UNUSED_PAD src0_sel:DWORD src1_sel:WORD_1
	v_mul_f16_sdwa v33, v40, v21 dst_sel:DWORD dst_unused:UNUSED_PAD src0_sel:DWORD src1_sel:WORD_1
	v_add_f16_e32 v35, v48, v31
	v_fma_f16 v30, v40, v21, v30
	v_fma_f16 v21, v47, v21, -v33
	v_add_f16_e32 v33, v23, v48
	v_fma_f16 v23, v35, -0.5, v23
	v_sub_f16_e32 v35, v14, v15
	v_fma_f16 v37, v35, s2, v23
	v_fma_f16 v23, v35, s3, v23
	v_add_f16_e32 v35, v27, v14
	v_add_f16_e32 v14, v14, v15
	v_add_f16_e32 v35, v35, v15
	v_fma_f16 v14, v14, -0.5, v27
	v_sub_f16_e32 v15, v48, v31
	v_add_f16_e32 v33, v33, v31
	v_fma_f16 v27, v15, s3, v14
	v_fma_f16 v31, v15, s2, v14
	v_add_f16_e32 v15, v29, v25
	v_add_f16_e32 v14, v34, v29
	v_fma_f16 v15, v15, -0.5, v34
	v_sub_f16_e32 v34, v16, v17
	v_fma_f16 v38, v34, s2, v15
	v_fma_f16 v15, v34, s3, v15
	v_add_f16_e32 v34, v43, v16
	v_add_f16_e32 v16, v16, v17
	v_add_f16_e32 v34, v34, v17
	v_fma_f16 v16, v16, -0.5, v43
	v_sub_f16_e32 v17, v29, v25
	v_add_f16_e32 v14, v14, v25
	v_fma_f16 v25, v17, s3, v16
	v_fma_f16 v29, v17, s2, v16
	v_add_f16_e32 v17, v24, v28
	;; [unrolled: 14-line block ×3, first 2 shown]
	v_fma_f16 v19, v19, -0.5, v36
	v_sub_f16_e32 v24, v20, v21
	v_add_f16_e32 v18, v36, v32
	v_fma_f16 v36, v24, s2, v19
	v_fma_f16 v19, v24, s3, v19
	v_add_f16_e32 v24, v45, v20
	v_add_f16_e32 v20, v20, v21
	;; [unrolled: 1-line block ×3, first 2 shown]
	v_fma_f16 v20, v20, -0.5, v45
	v_sub_f16_e32 v21, v32, v30
	v_add_f16_e32 v18, v18, v30
	v_fma_f16 v30, v21, s3, v20
	v_fma_f16 v32, v21, s2, v20
	v_mov_b32_e32 v20, 0xa20
	v_cndmask_b32_e32 v20, 0, v20, vcc
	ds_write_b16 v1, v33
	ds_write_b16 v1, v37 offset:864
	ds_write_b16 v1, v23 offset:1728
	v_add3_u32 v4, 0, v20, v4
	v_add3_u32 v33, 0, v13, v22
	ds_write_b16 v4, v14
	ds_write_b16 v4, v38 offset:864
	ds_write_b16 v4, v15 offset:1728
	ds_write_b16 v33, v16
	ds_write_b16 v33, v40 offset:864
	ds_write_b16 v33, v17 offset:1728
	;; [unrolled: 1-line block ×5, first 2 shown]
	s_waitcnt lgkmcnt(0)
	s_barrier
	ds_read_u16 v13, v1
	ds_read_u16 v17, v1 offset:5832
	ds_read_u16 v18, v1 offset:3240
	;; [unrolled: 1-line block ×8, first 2 shown]
	ds_read_u16 v20, v9
	ds_read_u16 v19, v8
	ds_read_u16 v24, v1 offset:7128
	s_waitcnt lgkmcnt(0)
	s_barrier
	ds_write_b16 v1, v35
	ds_write_b16 v1, v27 offset:864
	ds_write_b16 v1, v31 offset:1728
	ds_write_b16 v4, v34
	ds_write_b16 v4, v25 offset:864
	ds_write_b16 v4, v29 offset:1728
	;; [unrolled: 3-line block ×3, first 2 shown]
	ds_write_b16 v26, v42 offset:5184
	ds_write_b16 v26, v30 offset:6048
	;; [unrolled: 1-line block ×3, first 2 shown]
	s_waitcnt lgkmcnt(0)
	s_barrier
	s_and_saveexec_b64 s[6:7], s[0:1]
	s_cbranch_execz .LBB0_17
; %bb.16:
	v_lshlrev_b32_e32 v4, 1, v11
	v_lshl_add_u64 v[26:27], v[4:5], 2, s[4:5]
	v_add_co_u32_e32 v26, vcc, 0x1000, v26
	v_lshlrev_b32_e32 v4, 1, v10
	s_movk_i32 s0, 0x1000
	v_addc_co_u32_e32 v27, vcc, 0, v27, vcc
	v_lshl_add_u64 v[10:11], v[4:5], 2, s[4:5]
	v_add_co_u32_e32 v10, vcc, s0, v10
	v_lshlrev_b32_e32 v4, 1, v12
	s_nop 0
	v_addc_co_u32_e32 v11, vcc, 0, v11, vcc
	v_lshl_add_u64 v[28:29], v[4:5], 2, s[4:5]
	v_add_co_u32_e32 v28, vcc, s0, v28
	global_load_dwordx2 v[26:27], v[26:27], off offset:1024
	s_nop 0
	v_addc_co_u32_e32 v29, vcc, 0, v29, vcc
	global_load_dwordx2 v[28:29], v[28:29], off offset:1024
	v_add_co_u32_e32 v6, vcc, s0, v6
	global_load_dwordx2 v[10:11], v[10:11], off offset:1024
	s_nop 0
	v_addc_co_u32_e32 v7, vcc, 0, v7, vcc
	global_load_dwordx2 v[6:7], v[6:7], off offset:1024
	ds_read_u16 v4, v9
	ds_read_u16 v8, v8
	ds_read_u16 v9, v1 offset:7128
	ds_read_u16 v12, v1 offset:6480
	;; [unrolled: 1-line block ×9, first 2 shown]
	ds_read_u16 v1, v1
	s_movk_i32 s1, 0x2000
	s_waitcnt vmcnt(3)
	v_mul_f16_sdwa v36, v23, v26 dst_sel:DWORD dst_unused:UNUSED_PAD src0_sel:DWORD src1_sel:WORD_1
	v_mul_f16_sdwa v37, v24, v27 dst_sel:DWORD dst_unused:UNUSED_PAD src0_sel:DWORD src1_sel:WORD_1
	s_waitcnt lgkmcnt(5)
	v_mul_f16_sdwa v38, v31, v26 dst_sel:DWORD dst_unused:UNUSED_PAD src0_sel:DWORD src1_sel:WORD_1
	v_mul_f16_sdwa v39, v9, v27 dst_sel:DWORD dst_unused:UNUSED_PAD src0_sel:DWORD src1_sel:WORD_1
	v_fma_f16 v31, v26, v31, -v36
	v_fma_f16 v9, v27, v9, -v37
	s_waitcnt vmcnt(1)
	v_mul_f16_sdwa v40, v21, v10 dst_sel:DWORD dst_unused:UNUSED_PAD src0_sel:DWORD src1_sel:WORD_1
	v_mul_f16_sdwa v41, v22, v11 dst_sel:DWORD dst_unused:UNUSED_PAD src0_sel:DWORD src1_sel:WORD_1
	s_waitcnt lgkmcnt(4)
	v_mul_f16_sdwa v42, v32, v10 dst_sel:DWORD dst_unused:UNUSED_PAD src0_sel:DWORD src1_sel:WORD_1
	v_mul_f16_sdwa v43, v12, v11 dst_sel:DWORD dst_unused:UNUSED_PAD src0_sel:DWORD src1_sel:WORD_1
	v_fma_f16 v23, v23, v26, v38
	v_fma_f16 v24, v24, v27, v39
	v_fma_f16 v26, v10, v32, -v40
	v_fma_f16 v12, v11, v12, -v41
	v_fma_f16 v10, v21, v10, v42
	v_fma_f16 v11, v22, v11, v43
	v_add_f16_e32 v27, v31, v9
	v_add_f16_e32 v36, v23, v24
	v_sub_f16_e32 v37, v31, v9
	v_add_f16_e32 v31, v4, v31
	v_add_f16_e32 v38, v26, v12
	;; [unrolled: 1-line block ×3, first 2 shown]
	v_mul_f16_sdwa v21, v18, v28 dst_sel:DWORD dst_unused:UNUSED_PAD src0_sel:DWORD src1_sel:WORD_1
	v_mul_f16_sdwa v22, v17, v29 dst_sel:DWORD dst_unused:UNUSED_PAD src0_sel:DWORD src1_sel:WORD_1
	v_sub_f16_e32 v32, v23, v24
	v_add_f16_e32 v23, v20, v23
	v_sub_f16_e32 v39, v10, v11
	v_sub_f16_e32 v41, v26, v12
	v_add_f16_e32 v26, v8, v26
	v_fma_f16 v4, v27, -0.5, v4
	v_fma_f16 v20, v36, -0.5, v20
	v_add_f16_e32 v27, v31, v9
	v_fma_f16 v8, v38, -0.5, v8
	v_fma_f16 v9, v40, -0.5, v19
	v_add_f16_e32 v10, v19, v10
	s_waitcnt lgkmcnt(3)
	v_fma_f16 v21, v28, v33, -v21
	v_fma_f16 v22, v29, v25, -v22
	v_add_f16_e32 v23, v23, v24
	v_add_f16_e32 v12, v26, v12
	v_fma_f16 v19, v32, s2, v4
	v_fma_f16 v24, v37, s3, v20
	;; [unrolled: 1-line block ×8, first 2 shown]
	v_mul_f16_sdwa v8, v33, v28 dst_sel:DWORD dst_unused:UNUSED_PAD src0_sel:DWORD src1_sel:WORD_1
	v_mul_f16_sdwa v9, v25, v29 dst_sel:DWORD dst_unused:UNUSED_PAD src0_sel:DWORD src1_sel:WORD_1
	v_add_f16_e32 v10, v10, v11
	v_add_f16_e32 v11, v21, v22
	v_fma_f16 v8, v18, v28, v8
	v_fma_f16 v9, v17, v29, v9
	s_waitcnt lgkmcnt(1)
	v_fma_f16 v4, v11, -0.5, v35
	v_sub_f16_e32 v11, v8, v9
	v_add_f16_e32 v18, v8, v9
	v_add_f16_e32 v8, v16, v8
	v_fma_f16 v18, v18, -0.5, v16
	v_sub_f16_e32 v25, v21, v22
	v_add_f16_e32 v16, v8, v9
	s_waitcnt vmcnt(0)
	v_mul_f16_sdwa v8, v15, v6 dst_sel:DWORD dst_unused:UNUSED_PAD src0_sel:DWORD src1_sel:WORD_1
	v_mul_f16_sdwa v9, v14, v7 dst_sel:DWORD dst_unused:UNUSED_PAD src0_sel:DWORD src1_sel:WORD_1
	v_fma_f16 v17, v11, s2, v4
	v_fma_f16 v28, v25, s3, v18
	;; [unrolled: 1-line block ×4, first 2 shown]
	v_add_f16_e32 v18, v35, v21
	v_fma_f16 v8, v6, v34, -v8
	v_fma_f16 v9, v7, v30, -v9
	v_add_f16_e32 v18, v18, v22
	v_add_f16_e32 v21, v8, v9
	v_mul_f16_sdwa v22, v34, v6 dst_sel:DWORD dst_unused:UNUSED_PAD src0_sel:DWORD src1_sel:WORD_1
	s_waitcnt lgkmcnt(0)
	v_fma_f16 v21, v21, -0.5, v1
	v_fma_f16 v6, v15, v6, v22
	v_mul_f16_sdwa v15, v30, v7 dst_sel:DWORD dst_unused:UNUSED_PAD src0_sel:DWORD src1_sel:WORD_1
	v_add_f16_e32 v1, v1, v8
	v_fma_f16 v7, v14, v7, v15
	v_sub_f16_e32 v25, v8, v9
	v_add_f16_e32 v8, v1, v9
	v_add_f16_e32 v1, v13, v6
	v_sub_f16_e32 v14, v6, v7
	v_add_f16_e32 v22, v6, v7
	v_add_f16_e32 v6, v1, v7
	v_mov_b32_e32 v1, v5
	v_lshl_add_u64 v[2:3], v[0:1], 2, v[2:3]
	v_fma_f16 v22, v22, -0.5, v13
	v_pack_b32_f16 v1, v6, v8
	v_add_co_u32_e32 v6, vcc, s0, v2
	v_fma_f16 v15, v14, s2, v21
	v_fma_f16 v14, v14, s3, v21
	;; [unrolled: 1-line block ×3, first 2 shown]
	v_addc_co_u32_e32 v7, vcc, 0, v3, vcc
	v_fma_f16 v29, v25, s3, v22
	global_store_dword v[2:3], v1, off
	v_pack_b32_f16 v1, v21, v14
	v_add_co_u32_e32 v8, vcc, s1, v2
	global_store_dword v[6:7], v1, off offset:1088
	v_pack_b32_f16 v1, v29, v15
	v_addc_co_u32_e32 v9, vcc, 0, v3, vcc
	global_store_dword v[8:9], v1, off offset:2176
	v_pack_b32_f16 v1, v16, v18
	global_store_dword v[2:3], v1, off offset:1296
	v_pack_b32_f16 v1, v11, v4
	;; [unrolled: 2-line block ×3, first 2 shown]
	global_store_dword v[8:9], v1, off offset:3472
	v_add_u32_e32 v1, 0x288, v0
	s_mov_b32 s1, 0xca4587e7
	v_mul_hi_u32 v1, v1, s1
	v_lshrrev_b32_e32 v1, 10, v1
	v_mul_u32_u24_e32 v4, 0xa20, v1
	v_lshl_add_u64 v[6:7], v[4:5], 2, v[2:3]
	v_add_co_u32_e32 v8, vcc, s0, v6
	v_add_u32_e32 v0, 0x3cc, v0
	v_pack_b32_f16 v1, v10, v12
	v_addc_co_u32_e32 v9, vcc, 0, v7, vcc
	v_mul_hi_u32 v0, v0, s1
	global_store_dword v[6:7], v1, off offset:2592
	v_pack_b32_f16 v1, v37, v36
	v_add_co_u32_e32 v6, vcc, 0x3000, v6
	v_lshrrev_b32_e32 v0, 10, v0
	global_store_dword v[8:9], v1, off offset:3680
	v_pack_b32_f16 v1, v32, v31
	v_addc_co_u32_e32 v7, vcc, 0, v7, vcc
	v_mul_u32_u24_e32 v4, 0xa20, v0
	global_store_dword v[6:7], v1, off offset:672
	v_lshl_add_u64 v[0:1], v[4:5], 2, v[2:3]
	v_pack_b32_f16 v2, v23, v27
	global_store_dword v[0:1], v2, off offset:3888
	v_add_co_u32_e32 v2, vcc, 0x2000, v0
	v_pack_b32_f16 v4, v20, v26
	s_nop 0
	v_addc_co_u32_e32 v3, vcc, 0, v1, vcc
	v_add_co_u32_e32 v0, vcc, 0x3000, v0
	global_store_dword v[2:3], v4, off offset:880
	v_pack_b32_f16 v2, v24, v19
	v_addc_co_u32_e32 v1, vcc, 0, v1, vcc
	global_store_dword v[0:1], v2, off offset:1968
.LBB0_17:
	s_endpgm
	.section	.rodata,"a",@progbits
	.p2align	6, 0x0
	.amdhsa_kernel fft_rtc_back_len3888_factors_16_3_3_3_3_3_wgs_324_tpt_324_halfLds_half_ip_CI_unitstride_sbrr_dirReg
		.amdhsa_group_segment_fixed_size 0
		.amdhsa_private_segment_fixed_size 0
		.amdhsa_kernarg_size 88
		.amdhsa_user_sgpr_count 2
		.amdhsa_user_sgpr_dispatch_ptr 0
		.amdhsa_user_sgpr_queue_ptr 0
		.amdhsa_user_sgpr_kernarg_segment_ptr 1
		.amdhsa_user_sgpr_dispatch_id 0
		.amdhsa_user_sgpr_kernarg_preload_length 0
		.amdhsa_user_sgpr_kernarg_preload_offset 0
		.amdhsa_user_sgpr_private_segment_size 0
		.amdhsa_uses_dynamic_stack 0
		.amdhsa_enable_private_segment 0
		.amdhsa_system_sgpr_workgroup_id_x 1
		.amdhsa_system_sgpr_workgroup_id_y 0
		.amdhsa_system_sgpr_workgroup_id_z 0
		.amdhsa_system_sgpr_workgroup_info 0
		.amdhsa_system_vgpr_workitem_id 0
		.amdhsa_next_free_vgpr 55
		.amdhsa_next_free_sgpr 22
		.amdhsa_accum_offset 56
		.amdhsa_reserve_vcc 1
		.amdhsa_float_round_mode_32 0
		.amdhsa_float_round_mode_16_64 0
		.amdhsa_float_denorm_mode_32 3
		.amdhsa_float_denorm_mode_16_64 3
		.amdhsa_dx10_clamp 1
		.amdhsa_ieee_mode 1
		.amdhsa_fp16_overflow 0
		.amdhsa_tg_split 0
		.amdhsa_exception_fp_ieee_invalid_op 0
		.amdhsa_exception_fp_denorm_src 0
		.amdhsa_exception_fp_ieee_div_zero 0
		.amdhsa_exception_fp_ieee_overflow 0
		.amdhsa_exception_fp_ieee_underflow 0
		.amdhsa_exception_fp_ieee_inexact 0
		.amdhsa_exception_int_div_zero 0
	.end_amdhsa_kernel
	.text
.Lfunc_end0:
	.size	fft_rtc_back_len3888_factors_16_3_3_3_3_3_wgs_324_tpt_324_halfLds_half_ip_CI_unitstride_sbrr_dirReg, .Lfunc_end0-fft_rtc_back_len3888_factors_16_3_3_3_3_3_wgs_324_tpt_324_halfLds_half_ip_CI_unitstride_sbrr_dirReg
                                        ; -- End function
	.section	.AMDGPU.csdata,"",@progbits
; Kernel info:
; codeLenInByte = 9140
; NumSgprs: 28
; NumVgprs: 55
; NumAgprs: 0
; TotalNumVgprs: 55
; ScratchSize: 0
; MemoryBound: 0
; FloatMode: 240
; IeeeMode: 1
; LDSByteSize: 0 bytes/workgroup (compile time only)
; SGPRBlocks: 3
; VGPRBlocks: 6
; NumSGPRsForWavesPerEU: 28
; NumVGPRsForWavesPerEU: 55
; AccumOffset: 56
; Occupancy: 8
; WaveLimiterHint : 1
; COMPUTE_PGM_RSRC2:SCRATCH_EN: 0
; COMPUTE_PGM_RSRC2:USER_SGPR: 2
; COMPUTE_PGM_RSRC2:TRAP_HANDLER: 0
; COMPUTE_PGM_RSRC2:TGID_X_EN: 1
; COMPUTE_PGM_RSRC2:TGID_Y_EN: 0
; COMPUTE_PGM_RSRC2:TGID_Z_EN: 0
; COMPUTE_PGM_RSRC2:TIDIG_COMP_CNT: 0
; COMPUTE_PGM_RSRC3_GFX90A:ACCUM_OFFSET: 13
; COMPUTE_PGM_RSRC3_GFX90A:TG_SPLIT: 0
	.text
	.p2alignl 6, 3212836864
	.fill 256, 4, 3212836864
	.type	__hip_cuid_17c00be4a09efc0a,@object ; @__hip_cuid_17c00be4a09efc0a
	.section	.bss,"aw",@nobits
	.globl	__hip_cuid_17c00be4a09efc0a
__hip_cuid_17c00be4a09efc0a:
	.byte	0                               ; 0x0
	.size	__hip_cuid_17c00be4a09efc0a, 1

	.ident	"AMD clang version 19.0.0git (https://github.com/RadeonOpenCompute/llvm-project roc-6.4.0 25133 c7fe45cf4b819c5991fe208aaa96edf142730f1d)"
	.section	".note.GNU-stack","",@progbits
	.addrsig
	.addrsig_sym __hip_cuid_17c00be4a09efc0a
	.amdgpu_metadata
---
amdhsa.kernels:
  - .agpr_count:     0
    .args:
      - .actual_access:  read_only
        .address_space:  global
        .offset:         0
        .size:           8
        .value_kind:     global_buffer
      - .offset:         8
        .size:           8
        .value_kind:     by_value
      - .actual_access:  read_only
        .address_space:  global
        .offset:         16
        .size:           8
        .value_kind:     global_buffer
      - .actual_access:  read_only
        .address_space:  global
        .offset:         24
        .size:           8
        .value_kind:     global_buffer
      - .offset:         32
        .size:           8
        .value_kind:     by_value
      - .actual_access:  read_only
        .address_space:  global
        .offset:         40
        .size:           8
        .value_kind:     global_buffer
      - .actual_access:  read_only
        .address_space:  global
        .offset:         48
        .size:           8
        .value_kind:     global_buffer
      - .offset:         56
        .size:           4
        .value_kind:     by_value
      - .actual_access:  read_only
        .address_space:  global
        .offset:         64
        .size:           8
        .value_kind:     global_buffer
      - .actual_access:  read_only
        .address_space:  global
        .offset:         72
        .size:           8
        .value_kind:     global_buffer
      - .address_space:  global
        .offset:         80
        .size:           8
        .value_kind:     global_buffer
    .group_segment_fixed_size: 0
    .kernarg_segment_align: 8
    .kernarg_segment_size: 88
    .language:       OpenCL C
    .language_version:
      - 2
      - 0
    .max_flat_workgroup_size: 324
    .name:           fft_rtc_back_len3888_factors_16_3_3_3_3_3_wgs_324_tpt_324_halfLds_half_ip_CI_unitstride_sbrr_dirReg
    .private_segment_fixed_size: 0
    .sgpr_count:     28
    .sgpr_spill_count: 0
    .symbol:         fft_rtc_back_len3888_factors_16_3_3_3_3_3_wgs_324_tpt_324_halfLds_half_ip_CI_unitstride_sbrr_dirReg.kd
    .uniform_work_group_size: 1
    .uses_dynamic_stack: false
    .vgpr_count:     55
    .vgpr_spill_count: 0
    .wavefront_size: 64
amdhsa.target:   amdgcn-amd-amdhsa--gfx950
amdhsa.version:
  - 1
  - 2
...

	.end_amdgpu_metadata
